;; amdgpu-corpus repo=ROCm/rocFFT kind=compiled arch=gfx906 opt=O3
	.text
	.amdgcn_target "amdgcn-amd-amdhsa--gfx906"
	.amdhsa_code_object_version 6
	.protected	fft_rtc_fwd_len100_factors_10_5_2_wgs_200_tpt_10_dim3_dp_op_CI_CI_unitstride_sbrc_aligned_dirReg ; -- Begin function fft_rtc_fwd_len100_factors_10_5_2_wgs_200_tpt_10_dim3_dp_op_CI_CI_unitstride_sbrc_aligned_dirReg
	.globl	fft_rtc_fwd_len100_factors_10_5_2_wgs_200_tpt_10_dim3_dp_op_CI_CI_unitstride_sbrc_aligned_dirReg
	.p2align	8
	.type	fft_rtc_fwd_len100_factors_10_5_2_wgs_200_tpt_10_dim3_dp_op_CI_CI_unitstride_sbrc_aligned_dirReg,@function
fft_rtc_fwd_len100_factors_10_5_2_wgs_200_tpt_10_dim3_dp_op_CI_CI_unitstride_sbrc_aligned_dirReg: ; @fft_rtc_fwd_len100_factors_10_5_2_wgs_200_tpt_10_dim3_dp_op_CI_CI_unitstride_sbrc_aligned_dirReg
; %bb.0:
	s_load_dwordx8 s[8:15], s[4:5], 0x0
	s_waitcnt lgkmcnt(0)
	s_load_dwordx4 s[16:19], s[10:11], 0x8
	s_load_dwordx2 s[26:27], s[12:13], 0x8
	s_waitcnt lgkmcnt(0)
	s_mov_b32 s17, 0
	s_add_i32 s0, s16, -1
	s_mul_hi_u32 s0, s0, 0xcccccccd
	s_lshr_b32 s7, s0, 4
	s_add_i32 s7, s7, 1
	v_cvt_f32_u32_e32 v1, s7
	s_load_dwordx4 s[0:3], s[4:5], 0x50
	s_sub_i32 s4, 0, s7
	v_rcp_iflag_f32_e32 v1, v1
	v_mul_f32_e32 v1, 0x4f7ffffe, v1
	v_cvt_u32_f32_e32 v3, v1
	v_mov_b32_e32 v1, s18
	v_mov_b32_e32 v2, s19
	v_readfirstlane_b32 s5, v3
	s_mul_i32 s4, s4, s5
	s_mul_hi_u32 s4, s5, s4
	s_add_i32 s5, s5, s4
	s_mul_hi_u32 s4, s6, s5
	s_mul_i32 s5, s4, s7
	s_sub_i32 s5, s6, s5
	s_add_i32 s10, s4, 1
	s_sub_i32 s11, s5, s7
	s_cmp_ge_u32 s5, s7
	s_cselect_b32 s4, s10, s4
	s_cselect_b32 s5, s11, s5
	s_add_i32 s10, s4, 1
	s_cmp_ge_u32 s5, s7
	s_cselect_b32 s16, s10, s4
	s_load_dwordx2 s[4:5], s[14:15], 0x8
	v_cmp_lt_u64_e32 vcc, s[16:17], v[1:2]
	s_mov_b64 s[24:25], s[16:17]
	s_cbranch_vccnz .LBB0_2
; %bb.1:
	v_cvt_f32_u32_e32 v1, s18
	s_waitcnt lgkmcnt(0)
	s_sub_i32 s5, 0, s18
	v_rcp_iflag_f32_e32 v1, v1
	v_mul_f32_e32 v1, 0x4f7ffffe, v1
	v_cvt_u32_f32_e32 v1, v1
	v_readfirstlane_b32 s10, v1
	s_mul_i32 s5, s5, s10
	s_mul_hi_u32 s5, s10, s5
	s_add_i32 s10, s10, s5
	s_mul_hi_u32 s5, s16, s10
	s_mul_i32 s5, s5, s18
	s_sub_i32 s5, s16, s5
	s_sub_i32 s10, s5, s18
	s_cmp_ge_u32 s5, s18
	s_cselect_b32 s5, s10, s5
	s_sub_i32 s10, s5, s18
	s_cmp_ge_u32 s5, s18
	s_cselect_b32 s24, s10, s5
.LBB0_2:
	s_waitcnt lgkmcnt(0)
	s_mul_i32 s5, s16, s7
	s_sub_i32 s5, s6, s5
	s_mul_i32 s10, s5, 20
	s_mul_i32 s5, s7, s18
	v_cvt_f32_u32_e32 v1, s5
	s_load_dwordx4 s[20:23], s[12:13], 0x10
	s_mul_i32 s16, s10, s26
	s_load_dwordx4 s[12:15], s[14:15], 0x10
	v_rcp_iflag_f32_e32 v1, v1
	v_mov_b32_e32 v21, 0
	s_waitcnt lgkmcnt(0)
	s_mul_i32 s7, s21, s24
	s_mul_hi_u32 s11, s20, s24
	v_mul_f32_e32 v1, 0x4f7ffffe, v1
	v_cvt_u32_f32_e32 v1, v1
	s_add_i32 s19, s11, s7
	s_mul_i32 s7, s13, s24
	s_mul_hi_u32 s11, s12, s24
	s_add_i32 s7, s11, s7
	s_sub_i32 s11, 0, s5
	v_readfirstlane_b32 s13, v1
	s_mul_i32 s11, s11, s13
	s_mul_hi_u32 s11, s13, s11
	s_add_i32 s13, s13, s11
	s_mul_hi_u32 s11, s6, s13
	s_mul_i32 s13, s11, s5
	s_sub_i32 s6, s6, s13
	s_mul_i32 s18, s20, s24
	s_add_i32 s13, s11, 1
	s_sub_i32 s20, s6, s5
	s_cmp_ge_u32 s6, s5
	s_cselect_b32 s11, s13, s11
	s_cselect_b32 s6, s20, s6
	s_add_i32 s13, s11, 1
	s_cmp_ge_u32 s6, s5
	s_cselect_b32 s5, s13, s11
	s_mul_i32 s6, s23, s5
	s_mul_hi_u32 s11, s22, s5
	s_add_i32 s21, s11, s6
	s_mul_i32 s20, s22, s5
	s_mul_i32 s6, s15, s5
	s_mul_hi_u32 s11, s14, s5
	s_add_i32 s13, s11, s6
	s_lshl_b64 s[20:21], s[20:21], 4
	s_add_u32 s6, s0, s20
	v_mul_u32_u24_e32 v1, 0x290, v0
	s_addc_u32 s11, s1, s21
	s_lshl_b64 s[0:1], s[18:19], 4
	v_lshrrev_b32_e32 v46, 16, v1
	s_add_u32 s6, s6, s0
	v_mul_lo_u16_e32 v1, 0x64, v46
	v_mul_lo_u32 v20, s26, v46
	s_addc_u32 s11, s11, s1
	s_lshl_b64 s[0:1], s[16:17], 4
	v_sub_u16_e32 v47, v0, v1
	s_add_u32 s0, s6, s0
	s_addc_u32 s1, s11, s1
	v_lshlrev_b32_e32 v1, 4, v47
	v_mov_b32_e32 v2, s1
	v_add_co_u32_e32 v19, vcc, s0, v1
	v_addc_co_u32_e32 v29, vcc, 0, v2, vcc
	v_lshlrev_b64 v[1:2], 4, v[20:21]
	s_lshl_b32 s0, s26, 1
	v_add_co_u32_e32 v9, vcc, v19, v1
	v_add_u32_e32 v20, s0, v20
	v_addc_co_u32_e32 v10, vcc, v29, v2, vcc
	v_lshlrev_b64 v[1:2], 4, v[20:21]
	v_add_u32_e32 v20, s0, v20
	v_add_co_u32_e32 v11, vcc, v19, v1
	v_addc_co_u32_e32 v12, vcc, v29, v2, vcc
	global_load_dwordx4 v[1:4], v[9:10], off
	global_load_dwordx4 v[5:8], v[11:12], off
	v_lshlrev_b64 v[9:10], 4, v[20:21]
	v_add_u32_e32 v20, s0, v20
	v_add_co_u32_e32 v17, vcc, v19, v9
	v_addc_co_u32_e32 v18, vcc, v29, v10, vcc
	v_lshlrev_b64 v[9:10], 4, v[20:21]
	v_add_u32_e32 v20, s0, v20
	v_add_co_u32_e32 v22, vcc, v19, v9
	v_addc_co_u32_e32 v23, vcc, v29, v10, vcc
	global_load_dwordx4 v[9:12], v[17:18], off
	global_load_dwordx4 v[13:16], v[22:23], off
	v_lshlrev_b64 v[17:18], 4, v[20:21]
	v_add_u32_e32 v20, s0, v20
	v_add_co_u32_e32 v17, vcc, v19, v17
	v_lshlrev_b64 v[22:23], 4, v[20:21]
	v_addc_co_u32_e32 v18, vcc, v29, v18, vcc
	v_add_co_u32_e32 v26, vcc, v19, v22
	v_add_u32_e32 v20, s0, v20
	v_addc_co_u32_e32 v27, vcc, v29, v23, vcc
	global_load_dwordx4 v[22:25], v[17:18], off
	global_load_dwordx4 v[30:33], v[26:27], off
	v_lshlrev_b64 v[17:18], 4, v[20:21]
	v_add_u32_e32 v20, s0, v20
	v_add_co_u32_e32 v17, vcc, v19, v17
	v_lshlrev_b64 v[26:27], 4, v[20:21]
	v_addc_co_u32_e32 v18, vcc, v29, v18, vcc
	v_add_co_u32_e32 v26, vcc, v19, v26
	v_add_u32_e32 v20, s0, v20
	v_addc_co_u32_e32 v27, vcc, v29, v27, vcc
	global_load_dwordx4 v[34:37], v[17:18], off
	global_load_dwordx4 v[38:41], v[26:27], off
	v_lshlrev_b64 v[17:18], 4, v[20:21]
	v_add_u32_e32 v20, s0, v20
	v_add_co_u32_e32 v26, vcc, v19, v17
	v_addc_co_u32_e32 v27, vcc, v29, v18, vcc
	v_lshlrev_b64 v[17:18], 4, v[20:21]
	s_mov_b32 s20, 0x134454ff
	v_add_co_u32_e32 v28, vcc, v19, v17
	v_addc_co_u32_e32 v29, vcc, v29, v18, vcc
	global_load_dwordx4 v[17:20], v[26:27], off
	global_load_dwordx4 v[42:45], v[28:29], off
	v_mul_u32_u24_e32 v26, 0xccd, v0
	v_mul_lo_u16_e32 v27, 20, v47
	v_lshrrev_b32_e32 v29, 16, v26
	v_lshlrev_b32_e32 v27, 4, v27
	v_lshlrev_b32_e32 v28, 4, v46
	v_mul_lo_u16_e32 v26, 20, v29
	v_add3_u32 v46, 0, v27, v28
	v_sub_u16_e32 v26, v0, v26
	s_mov_b32 s21, 0x3fee6f0e
	s_mov_b32 s18, 0x4755a5e
	;; [unrolled: 1-line block ×11, first 2 shown]
	s_movk_i32 s6, 0xb40
	s_mov_b32 s11, s17
	s_waitcnt vmcnt(9)
	ds_write_b128 v46, v[1:4]
	v_add3_u32 v1, 0, v28, v27
	s_waitcnt vmcnt(8)
	ds_write_b128 v1, v[5:8] offset:32
	s_waitcnt vmcnt(7)
	ds_write_b128 v1, v[9:12] offset:64
	;; [unrolled: 2-line block ×9, first 2 shown]
	v_mul_u32_u24_e32 v1, 0x140, v29
	v_lshlrev_b32_e32 v28, 4, v26
	v_add3_u32 v30, 0, v1, v28
	s_waitcnt lgkmcnt(0)
	s_barrier
	ds_read_b128 v[24:27], v30
	ds_read_b128 v[17:20], v30 offset:3200
	ds_read_b128 v[31:34], v30 offset:6400
	;; [unrolled: 1-line block ×6, first 2 shown]
	s_waitcnt lgkmcnt(4)
	v_add_f64 v[1:2], v[24:25], v[31:32]
	ds_read_b128 v[9:12], v30 offset:22400
	ds_read_b128 v[43:46], v30 offset:25600
	s_waitcnt lgkmcnt(4)
	v_add_f64 v[22:23], v[35:36], v[39:40]
	v_add_f64 v[53:54], v[37:38], -v[41:42]
	v_add_f64 v[55:56], v[31:32], -v[35:36]
	v_add_f64 v[61:62], v[26:27], v[33:34]
	s_waitcnt lgkmcnt(0)
	v_add_f64 v[51:52], v[33:34], -v[45:46]
	v_add_f64 v[47:48], v[1:2], v[35:36]
	v_add_f64 v[57:58], v[43:44], -v[39:40]
	v_add_f64 v[59:60], v[31:32], v[43:44]
	v_fma_f64 v[49:50], v[22:23], -0.5, v[24:25]
	v_add_f64 v[63:64], v[31:32], -v[43:44]
	v_add_f64 v[31:32], v[35:36], -v[31:32]
	;; [unrolled: 1-line block ×3, first 2 shown]
	ds_read_b128 v[1:4], v30 offset:28800
	v_add_f64 v[22:23], v[47:48], v[39:40]
	v_add_f64 v[55:56], v[55:56], v[57:58]
	v_fma_f64 v[57:58], v[59:60], -0.5, v[24:25]
	v_fma_f64 v[47:48], v[51:52], s[20:21], v[49:50]
	v_add_f64 v[59:60], v[37:38], v[41:42]
	v_fma_f64 v[49:50], v[51:52], s[26:27], v[49:50]
	v_add_f64 v[65:66], v[45:46], -v[41:42]
	s_waitcnt lgkmcnt(0)
	v_add_f64 v[67:68], v[1:2], -v[9:10]
	v_add_f64 v[22:23], v[22:23], v[43:44]
	v_add_f64 v[43:44], v[39:40], -v[43:44]
	v_add_f64 v[39:40], v[33:34], -v[37:38]
	v_fma_f64 v[47:48], v[53:54], s[18:19], v[47:48]
	v_fma_f64 v[59:60], v[59:60], -0.5, v[26:27]
	v_fma_f64 v[49:50], v[53:54], s[22:23], v[49:50]
	s_barrier
	v_add_f64 v[31:32], v[31:32], v[43:44]
	v_add_f64 v[43:44], v[33:34], v[45:46]
	v_fma_f64 v[24:25], v[55:56], s[0:1], v[47:48]
	v_fma_f64 v[47:48], v[53:54], s[26:27], v[57:58]
	;; [unrolled: 1-line block ×3, first 2 shown]
	v_add_f64 v[57:58], v[61:62], v[37:38]
	v_fma_f64 v[61:62], v[63:64], s[26:27], v[59:60]
	v_fma_f64 v[49:50], v[55:56], s[0:1], v[49:50]
	v_add_f64 v[55:56], v[5:6], v[9:10]
	v_fma_f64 v[26:27], v[43:44], -0.5, v[26:27]
	v_fma_f64 v[59:60], v[63:64], s[20:21], v[59:60]
	v_fma_f64 v[47:48], v[51:52], s[18:19], v[47:48]
	;; [unrolled: 1-line block ×3, first 2 shown]
	v_add_f64 v[53:54], v[57:58], v[41:42]
	v_fma_f64 v[57:58], v[35:36], s[22:23], v[61:62]
	v_add_f64 v[33:34], v[37:38], -v[33:34]
	v_add_f64 v[37:38], v[41:42], -v[45:46]
	v_fma_f64 v[61:62], v[35:36], s[20:21], v[26:27]
	v_fma_f64 v[26:27], v[35:36], s[26:27], v[26:27]
	v_fma_f64 v[47:48], v[31:32], s[0:1], v[47:48]
	v_fma_f64 v[43:44], v[31:32], s[0:1], v[51:52]
	v_add_f64 v[51:52], v[53:54], v[45:46]
	v_add_f64 v[31:32], v[17:18], v[13:14]
	v_fma_f64 v[53:54], v[55:56], -0.5, v[17:18]
	v_add_f64 v[55:56], v[15:16], -v[3:4]
	v_add_f64 v[39:40], v[39:40], v[65:66]
	v_add_f64 v[45:46], v[7:8], -v[11:12]
	v_add_f64 v[65:66], v[13:14], -v[5:6]
	v_fma_f64 v[35:36], v[35:36], s[18:19], v[59:60]
	v_add_f64 v[59:60], v[13:14], v[1:2]
	v_add_f64 v[31:32], v[31:32], v[5:6]
	;; [unrolled: 1-line block ×3, first 2 shown]
	v_fma_f64 v[41:42], v[55:56], s[20:21], v[53:54]
	v_fma_f64 v[37:38], v[63:64], s[18:19], v[26:27]
	;; [unrolled: 1-line block ×4, first 2 shown]
	v_add_f64 v[63:64], v[65:66], v[67:68]
	v_fma_f64 v[26:27], v[39:40], s[0:1], v[35:36]
	v_add_f64 v[31:32], v[31:32], v[9:10]
	v_fma_f64 v[17:18], v[59:60], -0.5, v[17:18]
	v_fma_f64 v[41:42], v[45:46], s[18:19], v[41:42]
	v_add_f64 v[39:40], v[7:8], v[11:12]
	v_fma_f64 v[59:60], v[33:34], s[0:1], v[37:38]
	v_add_f64 v[37:38], v[15:16], v[3:4]
	v_fma_f64 v[35:36], v[55:56], s[26:27], v[53:54]
	v_fma_f64 v[53:54], v[33:34], s[0:1], v[61:62]
	v_add_f64 v[31:32], v[31:32], v[1:2]
	v_add_f64 v[61:62], v[13:14], -v[1:2]
	v_fma_f64 v[33:34], v[63:64], s[0:1], v[41:42]
	v_fma_f64 v[41:42], v[45:46], s[26:27], v[17:18]
	v_fma_f64 v[39:40], v[39:40], -0.5, v[19:20]
	v_add_f64 v[13:14], v[5:6], -v[13:14]
	v_add_f64 v[1:2], v[9:10], -v[1:2]
	;; [unrolled: 1-line block ×3, first 2 shown]
	v_fma_f64 v[9:10], v[37:38], -0.5, v[19:20]
	v_fma_f64 v[17:18], v[45:46], s[20:21], v[17:18]
	v_add_f64 v[19:20], v[19:20], v[15:16]
	v_fma_f64 v[35:36], v[45:46], s[22:23], v[35:36]
	v_fma_f64 v[37:38], v[55:56], s[18:19], v[41:42]
	;; [unrolled: 1-line block ×3, first 2 shown]
	v_add_f64 v[45:46], v[15:16], -v[7:8]
	v_add_f64 v[65:66], v[3:4], -v[11:12]
	v_add_f64 v[1:2], v[13:14], v[1:2]
	v_fma_f64 v[13:14], v[5:6], s[20:21], v[9:10]
	v_add_f64 v[15:16], v[7:8], -v[15:16]
	v_add_f64 v[67:68], v[11:12], -v[3:4]
	v_fma_f64 v[17:18], v[55:56], s[22:23], v[17:18]
	v_add_f64 v[7:8], v[19:20], v[7:8]
	v_fma_f64 v[39:40], v[61:62], s[20:21], v[39:40]
	v_fma_f64 v[9:10], v[5:6], s[26:27], v[9:10]
	;; [unrolled: 1-line block ×3, first 2 shown]
	v_add_f64 v[41:42], v[45:46], v[65:66]
	v_fma_f64 v[13:14], v[61:62], s[22:23], v[13:14]
	v_add_f64 v[15:16], v[15:16], v[67:68]
	v_fma_f64 v[37:38], v[1:2], s[0:1], v[37:38]
	v_fma_f64 v[17:18], v[1:2], s[0:1], v[17:18]
	v_add_f64 v[1:2], v[7:8], v[11:12]
	v_fma_f64 v[5:6], v[5:6], s[18:19], v[39:40]
	v_fma_f64 v[7:8], v[61:62], s[18:19], v[9:10]
	;; [unrolled: 1-line block ×5, first 2 shown]
	v_mul_f64 v[13:14], v[33:34], s[28:29]
	v_add_f64 v[45:46], v[1:2], v[3:4]
	v_fma_f64 v[3:4], v[41:42], s[0:1], v[5:6]
	v_fma_f64 v[5:6], v[15:16], s[0:1], v[7:8]
	v_mul_f64 v[15:16], v[17:18], s[0:1]
	v_mul_f64 v[19:20], v[35:36], s[28:29]
	v_mul_f64 v[7:8], v[11:12], s[20:21]
	v_fma_f64 v[39:40], v[9:10], s[18:19], v[13:14]
	v_mul_f64 v[13:14], v[33:34], s[22:23]
	v_mul_f64 v[33:34], v[37:38], s[26:27]
	;; [unrolled: 1-line block ×4, first 2 shown]
	v_fma_f64 v[61:62], v[5:6], s[20:21], -v[15:16]
	v_fma_f64 v[63:64], v[3:4], s[18:19], -v[19:20]
	v_fma_f64 v[37:38], v[37:38], s[0:1], v[7:8]
	v_add_f64 v[1:2], v[22:23], v[31:32]
	v_fma_f64 v[65:66], v[9:10], s[28:29], v[13:14]
	v_fma_f64 v[67:68], v[11:12], s[0:1], v[33:34]
	v_fma_f64 v[55:56], v[35:36], s[22:23], -v[55:56]
	v_fma_f64 v[41:42], v[17:18], s[26:27], -v[41:42]
	v_add_f64 v[3:4], v[51:52], v[45:46]
	v_add_f64 v[5:6], v[24:25], v[39:40]
	;; [unrolled: 1-line block ×9, first 2 shown]
	v_add_f64 v[22:23], v[22:23], -v[31:32]
	v_add_f64 v[31:32], v[24:25], -v[39:40]
	;; [unrolled: 1-line block ×7, first 2 shown]
	v_mad_u32_u24 v26, v29, s6, v30
	v_add_f64 v[39:40], v[43:44], -v[61:62]
	v_add_f64 v[43:44], v[49:50], -v[63:64]
	;; [unrolled: 1-line block ×3, first 2 shown]
	ds_write_b128 v26, v[1:4]
	ds_write_b128 v26, v[5:8] offset:320
	ds_write_b128 v26, v[9:12] offset:640
	ds_write_b128 v26, v[13:16] offset:960
	ds_write_b128 v26, v[17:20] offset:1280
	ds_write_b128 v26, v[22:25] offset:1600
	ds_write_b128 v26, v[31:34] offset:1920
	ds_write_b128 v26, v[35:38] offset:2240
	ds_write_b128 v26, v[39:42] offset:2560
	ds_write_b128 v26, v[43:46] offset:2880
	v_mul_lo_u16_e32 v1, 26, v29
	v_lshrrev_b16_e32 v10, 8, v1
	v_mul_lo_u16_e32 v1, 10, v10
	v_sub_u16_e32 v1, v29, v1
	v_and_b32_e32 v11, 0xff, v1
	v_lshlrev_b32_e32 v1, 6, v11
	s_waitcnt lgkmcnt(0)
	s_barrier
	global_load_dwordx4 v[14:17], v1, s[8:9]
	global_load_dwordx4 v[22:25], v1, s[8:9] offset:16
	global_load_dwordx4 v[31:34], v1, s[8:9] offset:32
	global_load_dwordx4 v[35:38], v1, s[8:9] offset:48
	v_add_u32_e32 v5, 10, v29
	v_mul_lo_u16_e32 v1, 0x67, v5
	v_lshrrev_b16_e32 v12, 10, v1
	v_mul_lo_u16_e32 v1, 10, v12
	v_sub_u16_e32 v1, v5, v1
	v_and_b32_e32 v13, 0xff, v1
	v_lshlrev_b32_e32 v1, 6, v13
	global_load_dwordx4 v[39:42], v1, s[8:9]
	global_load_dwordx4 v[43:46], v1, s[8:9] offset:16
	global_load_dwordx4 v[47:50], v1, s[8:9] offset:32
	;; [unrolled: 1-line block ×3, first 2 shown]
	v_add_u32_e32 v6, 20, v29
	v_mul_u32_u24_e32 v1, 0x140, v6
	v_add3_u32 v8, 0, v1, v28
	ds_read_b128 v[55:58], v8
	ds_read_b128 v[59:62], v30 offset:28800
	v_add_u32_e32 v9, 0xfffff380, v8
	v_mad_u32_u24 v10, v10, 50, v11
	v_mul_u32_u24_e32 v10, 0x140, v10
	v_add3_u32 v10, 0, v10, v28
	v_add_u32_e32 v7, 40, v29
	s_mul_i32 s6, s12, s24
	s_mul_i32 s12, s14, s5
	s_waitcnt vmcnt(7) lgkmcnt(1)
	v_mul_f64 v[26:27], v[57:58], v[16:17]
	v_mul_f64 v[71:72], v[55:56], v[16:17]
	ds_read_b128 v[16:19], v8 offset:6400
	ds_read_b128 v[1:4], v9
	ds_read_b128 v[63:66], v30 offset:19200
	ds_read_b128 v[67:70], v30 offset:16000
	s_waitcnt vmcnt(5) lgkmcnt(1)
	v_mul_f64 v[79:80], v[65:66], v[33:34]
	v_mul_f64 v[33:34], v[63:64], v[33:34]
	;; [unrolled: 1-line block ×4, first 2 shown]
	v_fma_f64 v[77:78], v[55:56], v[14:15], -v[26:27]
	ds_read_b128 v[24:27], v30 offset:25600
	v_fma_f64 v[71:72], v[57:58], v[14:15], v[71:72]
	v_fma_f64 v[63:64], v[63:64], v[31:32], -v[79:80]
	v_fma_f64 v[33:34], v[65:66], v[31:32], v[33:34]
	s_waitcnt vmcnt(4) lgkmcnt(0)
	v_mul_f64 v[31:32], v[24:25], v[37:38]
	v_fma_f64 v[73:74], v[16:17], v[22:23], -v[73:74]
	ds_read_b128 v[14:17], v30 offset:9600
	ds_read_b128 v[55:58], v30 offset:22400
	v_fma_f64 v[18:19], v[18:19], v[22:23], v[75:76]
	v_mul_f64 v[22:23], v[26:27], v[37:38]
	s_waitcnt vmcnt(2)
	v_mul_f64 v[65:66], v[69:70], v[45:46]
	s_waitcnt lgkmcnt(1)
	v_mul_f64 v[37:38], v[16:17], v[41:42]
	v_mul_f64 v[41:42], v[14:15], v[41:42]
	v_fma_f64 v[26:27], v[26:27], v[35:36], v[31:32]
	v_mul_f64 v[31:32], v[67:68], v[45:46]
	v_fma_f64 v[75:76], v[24:25], v[35:36], -v[22:23]
	v_fma_f64 v[65:66], v[67:68], v[43:44], -v[65:66]
	v_add_f64 v[35:36], v[73:74], v[63:64]
	v_fma_f64 v[79:80], v[16:17], v[39:40], v[41:42]
	s_waitcnt vmcnt(1) lgkmcnt(0)
	v_mul_f64 v[16:17], v[57:58], v[49:50]
	v_fma_f64 v[43:44], v[69:70], v[43:44], v[31:32]
	v_mul_f64 v[31:32], v[55:56], v[49:50]
	ds_read_b128 v[22:25], v30
	v_fma_f64 v[45:46], v[14:15], v[39:40], -v[37:38]
	s_waitcnt vmcnt(0)
	v_mul_f64 v[37:38], v[61:62], v[53:54]
	v_mul_f64 v[39:40], v[59:60], v[53:54]
	v_add_f64 v[67:68], v[71:72], v[26:27]
	v_fma_f64 v[49:50], v[55:56], v[47:48], -v[16:17]
	s_waitcnt lgkmcnt(0)
	v_fma_f64 v[16:17], v[35:36], -0.5, v[22:23]
	v_add_f64 v[35:36], v[71:72], -v[26:27]
	v_fma_f64 v[47:48], v[57:58], v[47:48], v[31:32]
	v_add_f64 v[31:32], v[77:78], v[75:76]
	v_add_f64 v[14:15], v[22:23], v[77:78]
	v_fma_f64 v[53:54], v[59:60], v[51:52], -v[37:38]
	v_fma_f64 v[57:58], v[61:62], v[51:52], v[39:40]
	v_add_f64 v[37:38], v[77:78], -v[73:74]
	v_add_f64 v[39:40], v[75:76], -v[63:64]
	v_fma_f64 v[41:42], v[35:36], s[20:21], v[16:17]
	v_add_f64 v[51:52], v[18:19], -v[33:34]
	v_add_f64 v[55:56], v[73:74], -v[77:78]
	;; [unrolled: 1-line block ×3, first 2 shown]
	v_fma_f64 v[22:23], v[31:32], -0.5, v[22:23]
	v_add_f64 v[31:32], v[24:25], v[71:72]
	v_add_f64 v[61:62], v[18:19], v[33:34]
	v_fma_f64 v[16:17], v[35:36], s[26:27], v[16:17]
	v_add_f64 v[14:15], v[14:15], v[73:74]
	v_add_f64 v[37:38], v[37:38], v[39:40]
	v_fma_f64 v[39:40], v[51:52], s[18:19], v[41:42]
	v_add_f64 v[41:42], v[55:56], v[59:60]
	v_fma_f64 v[55:56], v[51:52], s[26:27], v[22:23]
	v_add_f64 v[31:32], v[31:32], v[18:19]
	v_fma_f64 v[59:60], v[61:62], -0.5, v[24:25]
	v_add_f64 v[61:62], v[77:78], -v[75:76]
	v_fma_f64 v[16:17], v[51:52], s[22:23], v[16:17]
	v_fma_f64 v[51:52], v[51:52], s[20:21], v[22:23]
	v_add_f64 v[14:15], v[14:15], v[63:64]
	v_fma_f64 v[22:23], v[37:38], s[0:1], v[39:40]
	v_fma_f64 v[39:40], v[35:36], s[18:19], v[55:56]
	v_add_f64 v[55:56], v[31:32], v[33:34]
	v_add_f64 v[63:64], v[73:74], -v[63:64]
	v_fma_f64 v[69:70], v[61:62], s[26:27], v[59:60]
	v_fma_f64 v[24:25], v[67:68], -0.5, v[24:25]
	v_add_f64 v[67:68], v[71:72], -v[18:19]
	v_add_f64 v[73:74], v[26:27], -v[33:34]
	v_fma_f64 v[59:60], v[61:62], s[20:21], v[59:60]
	v_fma_f64 v[31:32], v[37:38], s[0:1], v[16:17]
	;; [unrolled: 1-line block ×3, first 2 shown]
	v_add_f64 v[51:52], v[65:66], v[49:50]
	v_add_f64 v[16:17], v[55:56], v[26:27]
	v_fma_f64 v[35:36], v[41:42], s[0:1], v[39:40]
	v_fma_f64 v[39:40], v[63:64], s[22:23], v[69:70]
	v_add_f64 v[55:56], v[67:68], v[73:74]
	v_fma_f64 v[59:60], v[63:64], s[18:19], v[59:60]
	v_fma_f64 v[67:68], v[63:64], s[20:21], v[24:25]
	v_add_f64 v[18:19], v[18:19], -v[71:72]
	v_add_f64 v[26:27], v[33:34], -v[26:27]
	v_fma_f64 v[63:64], v[63:64], s[26:27], v[24:25]
	v_add_f64 v[69:70], v[1:2], v[45:46]
	v_fma_f64 v[51:52], v[51:52], -0.5, v[1:2]
	v_add_f64 v[71:72], v[79:80], -v[57:58]
	v_fma_f64 v[33:34], v[55:56], s[0:1], v[59:60]
	v_add_f64 v[59:60], v[45:46], v[53:54]
	v_fma_f64 v[24:25], v[55:56], s[0:1], v[39:40]
	v_fma_f64 v[55:56], v[61:62], s[22:23], v[67:68]
	v_add_f64 v[18:19], v[18:19], v[26:27]
	v_fma_f64 v[26:27], v[61:62], s[18:19], v[63:64]
	v_add_f64 v[61:62], v[69:70], v[65:66]
	v_add_f64 v[69:70], v[45:46], -v[65:66]
	v_add_f64 v[73:74], v[53:54], -v[49:50]
	v_fma_f64 v[63:64], v[71:72], s[20:21], v[51:52]
	v_add_f64 v[67:68], v[43:44], -v[47:48]
	v_fma_f64 v[51:52], v[71:72], s[26:27], v[51:52]
	v_fma_f64 v[1:2], v[59:60], -0.5, v[1:2]
	v_add_f64 v[59:60], v[43:44], v[47:48]
	v_fma_f64 v[39:40], v[41:42], s[0:1], v[37:38]
	v_fma_f64 v[37:38], v[18:19], s[0:1], v[55:56]
	v_add_f64 v[55:56], v[69:70], v[73:74]
	v_add_f64 v[73:74], v[79:80], v[57:58]
	;; [unrolled: 1-line block ×3, first 2 shown]
	v_fma_f64 v[41:42], v[18:19], s[0:1], v[26:27]
	v_add_f64 v[18:19], v[61:62], v[49:50]
	v_fma_f64 v[26:27], v[67:68], s[18:19], v[63:64]
	v_add_f64 v[63:64], v[65:66], -v[45:46]
	v_add_f64 v[69:70], v[49:50], -v[53:54]
	v_add_f64 v[75:76], v[3:4], v[79:80]
	v_fma_f64 v[51:52], v[67:68], s[22:23], v[51:52]
	v_fma_f64 v[61:62], v[67:68], s[26:27], v[1:2]
	;; [unrolled: 1-line block ×3, first 2 shown]
	v_fma_f64 v[59:60], v[59:60], -0.5, v[3:4]
	v_add_f64 v[45:46], v[45:46], -v[53:54]
	v_add_f64 v[49:50], v[65:66], -v[49:50]
	v_fma_f64 v[3:4], v[73:74], -0.5, v[3:4]
	v_add_f64 v[1:2], v[18:19], v[53:54]
	v_add_f64 v[53:54], v[63:64], v[69:70]
	;; [unrolled: 1-line block ×3, first 2 shown]
	v_fma_f64 v[18:19], v[71:72], s[18:19], v[61:62]
	v_fma_f64 v[61:62], v[71:72], s[22:23], v[67:68]
	;; [unrolled: 1-line block ×3, first 2 shown]
	v_add_f64 v[67:68], v[79:80], -v[43:44]
	v_add_f64 v[69:70], v[57:58], -v[47:48]
	v_fma_f64 v[59:60], v[45:46], s[20:21], v[59:60]
	v_fma_f64 v[71:72], v[49:50], s[20:21], v[3:4]
	v_add_f64 v[73:74], v[43:44], -v[79:80]
	v_add_f64 v[75:76], v[47:48], -v[57:58]
	v_fma_f64 v[3:4], v[49:50], s[26:27], v[3:4]
	v_fma_f64 v[43:44], v[55:56], s[0:1], v[26:27]
	v_add_f64 v[26:27], v[63:64], v[47:48]
	v_fma_f64 v[63:64], v[49:50], s[22:23], v[65:66]
	v_add_f64 v[65:66], v[67:68], v[69:70]
	v_fma_f64 v[49:50], v[49:50], s[18:19], v[59:60]
	v_fma_f64 v[59:60], v[45:46], s[22:23], v[71:72]
	v_add_f64 v[67:68], v[73:74], v[75:76]
	v_fma_f64 v[69:70], v[45:46], s[18:19], v[3:4]
	;; [unrolled: 3-line block ×3, first 2 shown]
	v_fma_f64 v[45:46], v[65:66], s[0:1], v[63:64]
	v_fma_f64 v[55:56], v[53:54], s[0:1], v[61:62]
	;; [unrolled: 1-line block ×5, first 2 shown]
	s_barrier
	ds_write_b128 v10, v[14:17]
	ds_write_b128 v10, v[22:25] offset:3200
	ds_write_b128 v10, v[35:38] offset:6400
	;; [unrolled: 1-line block ×4, first 2 shown]
	v_mad_u32_u24 v10, v12, 50, v13
	v_mul_u32_u24_e32 v10, 0x140, v10
	v_add3_u32 v10, 0, v10, v28
	s_movk_i32 s0, 0x3e8
	ds_write_b128 v10, v[1:4]
	ds_write_b128 v10, v[43:46] offset:3200
	ds_write_b128 v10, v[51:54] offset:6400
	;; [unrolled: 1-line block ×4, first 2 shown]
	v_subrev_u32_e32 v2, 50, v29
	v_cmp_gt_u32_e32 vcc, s0, v0
	v_cndmask_b32_e32 v20, v2, v29, vcc
	v_lshlrev_b64 v[2:3], 4, v[20:21]
	v_mov_b32_e32 v26, s9
	v_add_co_u32_e32 v2, vcc, s8, v2
	v_addc_co_u32_e32 v3, vcc, v26, v3, vcc
	s_movk_i32 s0, 0x320
	v_subrev_u32_e32 v4, 40, v29
	v_cmp_gt_u32_e32 vcc, s0, v0
	v_cndmask_b32_e32 v67, v4, v5, vcc
	v_mov_b32_e32 v68, v21
	v_lshlrev_b64 v[10:11], 4, v[67:68]
	s_movk_i32 s0, 0x258
	v_add_co_u32_e32 v18, vcc, s8, v10
	v_addc_co_u32_e32 v19, vcc, v26, v11, vcc
	s_waitcnt lgkmcnt(0)
	s_barrier
	global_load_dwordx4 v[10:13], v[2:3], off offset:640
	global_load_dwordx4 v[14:17], v[18:19], off offset:640
	v_subrev_u32_e32 v2, 30, v29
	v_cmp_gt_u32_e32 vcc, s0, v0
	v_cndmask_b32_e32 v2, v2, v6, vcc
	v_mov_b32_e32 v3, v21
	v_lshlrev_b64 v[3:4], 4, v[2:3]
	s_movk_i32 s0, 0x190
	v_add_co_u32_e32 v3, vcc, s8, v3
	v_addc_co_u32_e32 v4, vcc, v26, v4, vcc
	v_add_u32_e32 v1, 30, v29
	v_subrev_u32_e32 v18, 20, v29
	v_cmp_gt_u32_e32 vcc, s0, v0
	v_cndmask_b32_e32 v68, v18, v1, vcc
	v_mov_b32_e32 v69, v21
	v_lshlrev_b64 v[18:19], 4, v[68:69]
	s_movk_i32 s0, 0xc8
	v_add_co_u32_e32 v18, vcc, s8, v18
	v_addc_co_u32_e32 v19, vcc, v26, v19, vcc
	global_load_dwordx4 v[22:25], v[3:4], off offset:640
	global_load_dwordx4 v[31:34], v[18:19], off offset:640
	v_add_u32_e32 v3, -10, v29
	v_cmp_gt_u32_e32 vcc, s0, v0
	v_cndmask_b32_e32 v3, v3, v7, vcc
	v_mov_b32_e32 v4, v21
	v_lshlrev_b64 v[18:19], 4, v[3:4]
	v_mul_u32_u24_e32 v4, 0x140, v1
	v_add_co_u32_e32 v18, vcc, s8, v18
	v_addc_co_u32_e32 v19, vcc, v26, v19, vcc
	global_load_dwordx4 v[35:38], v[18:19], off offset:640
	ds_read_b128 v[39:42], v30
	ds_read_b128 v[43:46], v30 offset:16000
	ds_read_b128 v[47:50], v30 offset:19200
	;; [unrolled: 1-line block ×3, first 2 shown]
	v_add3_u32 v4, 0, v4, v28
	s_movk_i32 s0, 0x3e7
	v_cmp_lt_u32_e32 vcc, s0, v0
	s_lshl_b64 s[0:1], s[6:7], 4
	s_add_u32 s2, s2, s0
	s_addc_u32 s3, s3, s1
	s_lshl_b64 s[0:1], s[10:11], 4
	s_add_u32 s2, s2, s0
	s_addc_u32 s3, s3, s1
	;; [unrolled: 3-line block ×3, first 2 shown]
	s_waitcnt vmcnt(4) lgkmcnt(2)
	v_mul_f64 v[26:27], v[45:46], v[12:13]
	v_mul_f64 v[12:13], v[43:44], v[12:13]
	s_waitcnt vmcnt(3) lgkmcnt(1)
	v_mul_f64 v[69:70], v[49:50], v[16:17]
	v_mul_f64 v[71:72], v[47:48], v[16:17]
	ds_read_b128 v[16:19], v9
	ds_read_b128 v[55:58], v4
	ds_read_b128 v[59:62], v30 offset:25600
	ds_read_b128 v[63:66], v30 offset:28800
	v_mov_b32_e32 v4, 0x64
	v_cndmask_b32_e32 v0, 0, v4, vcc
	v_add_u32_e32 v0, v20, v0
	v_fma_f64 v[26:27], v[43:44], v[10:11], -v[26:27]
	v_fma_f64 v[11:12], v[45:46], v[10:11], v[12:13]
	v_fma_f64 v[47:48], v[47:48], v[14:15], -v[69:70]
	v_fma_f64 v[13:14], v[49:50], v[14:15], v[71:72]
	v_mul_lo_u32 v20, v0, s4
	v_mov_b32_e32 v0, s1
	v_add_f64 v[9:10], v[39:40], -v[26:27]
	v_add_f64 v[11:12], v[41:42], -v[11:12]
	s_waitcnt vmcnt(2) lgkmcnt(4)
	v_mul_f64 v[29:30], v[53:54], v[24:25]
	v_mul_f64 v[49:50], v[51:52], v[24:25]
	s_waitcnt vmcnt(1) lgkmcnt(1)
	v_mul_f64 v[69:70], v[61:62], v[33:34]
	v_mul_f64 v[33:34], v[59:60], v[33:34]
	ds_read_b128 v[24:27], v8
	ds_read_b128 v[43:46], v8 offset:6400
	v_add_co_u32_e32 v8, vcc, s0, v28
	s_mul_i32 s0, s4, 50
	v_fma_f64 v[51:52], v[51:52], v[22:23], -v[29:30]
	v_fma_f64 v[22:23], v[53:54], v[22:23], v[49:50]
	v_fma_f64 v[49:50], v[59:60], v[31:32], -v[69:70]
	v_fma_f64 v[53:54], v[61:62], v[31:32], v[33:34]
	s_waitcnt vmcnt(0) lgkmcnt(2)
	v_mul_f64 v[71:72], v[65:66], v[37:38]
	v_mul_f64 v[37:38], v[63:64], v[37:38]
	v_add_f64 v[33:34], v[16:17], -v[47:48]
	v_fma_f64 v[29:30], v[39:40], 2.0, -v[9:10]
	v_fma_f64 v[31:32], v[41:42], 2.0, -v[11:12]
	s_waitcnt lgkmcnt(1)
	v_add_f64 v[39:40], v[26:27], -v[22:23]
	v_add_f64 v[47:48], v[55:56], -v[49:50]
	;; [unrolled: 1-line block ×3, first 2 shown]
	v_fma_f64 v[59:60], v[63:64], v[35:36], -v[71:72]
	v_fma_f64 v[61:62], v[65:66], v[35:36], v[37:38]
	v_add_f64 v[35:36], v[18:19], -v[13:14]
	v_fma_f64 v[13:14], v[16:17], 2.0, -v[33:34]
	v_add_f64 v[37:38], v[24:25], -v[51:52]
	v_fma_f64 v[55:56], v[55:56], 2.0, -v[47:48]
	v_fma_f64 v[57:58], v[57:58], 2.0, -v[49:50]
	s_waitcnt lgkmcnt(0)
	v_add_f64 v[51:52], v[43:44], -v[59:60]
	v_add_f64 v[53:54], v[45:46], -v[61:62]
	v_fma_f64 v[15:16], v[18:19], 2.0, -v[35:36]
	v_lshlrev_b64 v[17:18], 4, v[20:21]
	v_addc_co_u32_e32 v19, vcc, 0, v0, vcc
	v_add_co_u32_e32 v17, vcc, v8, v17
	v_sub_u32_e32 v0, v5, v67
	v_addc_co_u32_e32 v18, vcc, v19, v18, vcc
	v_add_u32_e32 v20, s0, v20
	v_add_u32_e32 v0, v0, v5
	global_store_dwordx4 v[17:18], v[29:32], off
	v_lshlrev_b64 v[17:18], 4, v[20:21]
	v_mul_lo_u32 v20, v0, s4
	v_add_co_u32_e32 v4, vcc, v8, v17
	v_addc_co_u32_e32 v5, vcc, v19, v18, vcc
	global_store_dwordx4 v[4:5], v[9:12], off
	v_lshlrev_b64 v[4:5], 4, v[20:21]
	v_sub_u32_e32 v0, v6, v2
	v_add_co_u32_e32 v4, vcc, v8, v4
	v_addc_co_u32_e32 v5, vcc, v19, v5, vcc
	v_add_u32_e32 v20, s0, v20
	v_add_u32_e32 v0, v0, v6
	v_fma_f64 v[22:23], v[24:25], 2.0, -v[37:38]
	v_fma_f64 v[24:25], v[26:27], 2.0, -v[39:40]
	global_store_dwordx4 v[4:5], v[13:16], off
	v_lshlrev_b64 v[4:5], 4, v[20:21]
	v_mul_lo_u32 v20, v0, s4
	v_add_co_u32_e32 v4, vcc, v8, v4
	v_addc_co_u32_e32 v5, vcc, v19, v5, vcc
	global_store_dwordx4 v[4:5], v[33:36], off
	v_lshlrev_b64 v[4:5], 4, v[20:21]
	v_sub_u32_e32 v0, v1, v68
	v_add_co_u32_e32 v4, vcc, v8, v4
	v_addc_co_u32_e32 v5, vcc, v19, v5, vcc
	v_add_u32_e32 v20, s0, v20
	v_add_u32_e32 v0, v0, v1
	global_store_dwordx4 v[4:5], v[22:25], off
	v_lshlrev_b64 v[4:5], 4, v[20:21]
	v_mul_lo_u32 v20, v0, s4
	v_add_co_u32_e32 v0, vcc, v8, v4
	v_addc_co_u32_e32 v1, vcc, v19, v5, vcc
	global_store_dwordx4 v[0:1], v[37:40], off
	v_lshlrev_b64 v[0:1], 4, v[20:21]
	v_sub_u32_e32 v2, v7, v3
	v_add_co_u32_e32 v0, vcc, v8, v0
	v_addc_co_u32_e32 v1, vcc, v19, v1, vcc
	v_add_u32_e32 v20, s0, v20
	v_add_u32_e32 v2, v2, v7
	v_fma_f64 v[41:42], v[43:44], 2.0, -v[51:52]
	v_fma_f64 v[43:44], v[45:46], 2.0, -v[53:54]
	global_store_dwordx4 v[0:1], v[55:58], off
	v_lshlrev_b64 v[0:1], 4, v[20:21]
	v_mul_lo_u32 v20, v2, s4
	v_add_co_u32_e32 v0, vcc, v8, v0
	v_addc_co_u32_e32 v1, vcc, v19, v1, vcc
	global_store_dwordx4 v[0:1], v[47:50], off
	v_lshlrev_b64 v[0:1], 4, v[20:21]
	v_add_u32_e32 v20, s0, v20
	v_add_co_u32_e32 v0, vcc, v8, v0
	v_addc_co_u32_e32 v1, vcc, v19, v1, vcc
	global_store_dwordx4 v[0:1], v[41:44], off
	v_lshlrev_b64 v[0:1], 4, v[20:21]
	v_add_co_u32_e32 v0, vcc, v8, v0
	v_addc_co_u32_e32 v1, vcc, v19, v1, vcc
	global_store_dwordx4 v[0:1], v[51:54], off
	s_endpgm
	.section	.rodata,"a",@progbits
	.p2align	6, 0x0
	.amdhsa_kernel fft_rtc_fwd_len100_factors_10_5_2_wgs_200_tpt_10_dim3_dp_op_CI_CI_unitstride_sbrc_aligned_dirReg
		.amdhsa_group_segment_fixed_size 0
		.amdhsa_private_segment_fixed_size 0
		.amdhsa_kernarg_size 96
		.amdhsa_user_sgpr_count 6
		.amdhsa_user_sgpr_private_segment_buffer 1
		.amdhsa_user_sgpr_dispatch_ptr 0
		.amdhsa_user_sgpr_queue_ptr 0
		.amdhsa_user_sgpr_kernarg_segment_ptr 1
		.amdhsa_user_sgpr_dispatch_id 0
		.amdhsa_user_sgpr_flat_scratch_init 0
		.amdhsa_user_sgpr_private_segment_size 0
		.amdhsa_uses_dynamic_stack 0
		.amdhsa_system_sgpr_private_segment_wavefront_offset 0
		.amdhsa_system_sgpr_workgroup_id_x 1
		.amdhsa_system_sgpr_workgroup_id_y 0
		.amdhsa_system_sgpr_workgroup_id_z 0
		.amdhsa_system_sgpr_workgroup_info 0
		.amdhsa_system_vgpr_workitem_id 0
		.amdhsa_next_free_vgpr 81
		.amdhsa_next_free_sgpr 30
		.amdhsa_reserve_vcc 1
		.amdhsa_reserve_flat_scratch 0
		.amdhsa_float_round_mode_32 0
		.amdhsa_float_round_mode_16_64 0
		.amdhsa_float_denorm_mode_32 3
		.amdhsa_float_denorm_mode_16_64 3
		.amdhsa_dx10_clamp 1
		.amdhsa_ieee_mode 1
		.amdhsa_fp16_overflow 0
		.amdhsa_exception_fp_ieee_invalid_op 0
		.amdhsa_exception_fp_denorm_src 0
		.amdhsa_exception_fp_ieee_div_zero 0
		.amdhsa_exception_fp_ieee_overflow 0
		.amdhsa_exception_fp_ieee_underflow 0
		.amdhsa_exception_fp_ieee_inexact 0
		.amdhsa_exception_int_div_zero 0
	.end_amdhsa_kernel
	.text
.Lfunc_end0:
	.size	fft_rtc_fwd_len100_factors_10_5_2_wgs_200_tpt_10_dim3_dp_op_CI_CI_unitstride_sbrc_aligned_dirReg, .Lfunc_end0-fft_rtc_fwd_len100_factors_10_5_2_wgs_200_tpt_10_dim3_dp_op_CI_CI_unitstride_sbrc_aligned_dirReg
                                        ; -- End function
	.section	.AMDGPU.csdata,"",@progbits
; Kernel info:
; codeLenInByte = 5132
; NumSgprs: 34
; NumVgprs: 81
; ScratchSize: 0
; MemoryBound: 0
; FloatMode: 240
; IeeeMode: 1
; LDSByteSize: 0 bytes/workgroup (compile time only)
; SGPRBlocks: 4
; VGPRBlocks: 20
; NumSGPRsForWavesPerEU: 34
; NumVGPRsForWavesPerEU: 81
; Occupancy: 3
; WaveLimiterHint : 1
; COMPUTE_PGM_RSRC2:SCRATCH_EN: 0
; COMPUTE_PGM_RSRC2:USER_SGPR: 6
; COMPUTE_PGM_RSRC2:TRAP_HANDLER: 0
; COMPUTE_PGM_RSRC2:TGID_X_EN: 1
; COMPUTE_PGM_RSRC2:TGID_Y_EN: 0
; COMPUTE_PGM_RSRC2:TGID_Z_EN: 0
; COMPUTE_PGM_RSRC2:TIDIG_COMP_CNT: 0
	.type	__hip_cuid_3318e28db70ebb3f,@object ; @__hip_cuid_3318e28db70ebb3f
	.section	.bss,"aw",@nobits
	.globl	__hip_cuid_3318e28db70ebb3f
__hip_cuid_3318e28db70ebb3f:
	.byte	0                               ; 0x0
	.size	__hip_cuid_3318e28db70ebb3f, 1

	.ident	"AMD clang version 19.0.0git (https://github.com/RadeonOpenCompute/llvm-project roc-6.4.0 25133 c7fe45cf4b819c5991fe208aaa96edf142730f1d)"
	.section	".note.GNU-stack","",@progbits
	.addrsig
	.addrsig_sym __hip_cuid_3318e28db70ebb3f
	.amdgpu_metadata
---
amdhsa.kernels:
  - .args:
      - .actual_access:  read_only
        .address_space:  global
        .offset:         0
        .size:           8
        .value_kind:     global_buffer
      - .actual_access:  read_only
        .address_space:  global
        .offset:         8
        .size:           8
        .value_kind:     global_buffer
      - .actual_access:  read_only
        .address_space:  global
        .offset:         16
        .size:           8
        .value_kind:     global_buffer
      - .actual_access:  read_only
        .address_space:  global
        .offset:         24
        .size:           8
        .value_kind:     global_buffer
      - .offset:         32
        .size:           8
        .value_kind:     by_value
      - .actual_access:  read_only
        .address_space:  global
        .offset:         40
        .size:           8
        .value_kind:     global_buffer
      - .actual_access:  read_only
        .address_space:  global
        .offset:         48
        .size:           8
        .value_kind:     global_buffer
      - .offset:         56
        .size:           4
        .value_kind:     by_value
      - .actual_access:  read_only
        .address_space:  global
        .offset:         64
        .size:           8
        .value_kind:     global_buffer
      - .actual_access:  read_only
        .address_space:  global
        .offset:         72
        .size:           8
        .value_kind:     global_buffer
      - .actual_access:  read_only
        .address_space:  global
        .offset:         80
        .size:           8
        .value_kind:     global_buffer
      - .actual_access:  write_only
        .address_space:  global
        .offset:         88
        .size:           8
        .value_kind:     global_buffer
    .group_segment_fixed_size: 0
    .kernarg_segment_align: 8
    .kernarg_segment_size: 96
    .language:       OpenCL C
    .language_version:
      - 2
      - 0
    .max_flat_workgroup_size: 200
    .name:           fft_rtc_fwd_len100_factors_10_5_2_wgs_200_tpt_10_dim3_dp_op_CI_CI_unitstride_sbrc_aligned_dirReg
    .private_segment_fixed_size: 0
    .sgpr_count:     34
    .sgpr_spill_count: 0
    .symbol:         fft_rtc_fwd_len100_factors_10_5_2_wgs_200_tpt_10_dim3_dp_op_CI_CI_unitstride_sbrc_aligned_dirReg.kd
    .uniform_work_group_size: 1
    .uses_dynamic_stack: false
    .vgpr_count:     81
    .vgpr_spill_count: 0
    .wavefront_size: 64
amdhsa.target:   amdgcn-amd-amdhsa--gfx906
amdhsa.version:
  - 1
  - 2
...

	.end_amdgpu_metadata
